;; amdgpu-corpus repo=ROCm/rocFFT kind=compiled arch=gfx906 opt=O3
	.text
	.amdgcn_target "amdgcn-amd-amdhsa--gfx906"
	.amdhsa_code_object_version 6
	.protected	fft_rtc_fwd_len1620_factors_10_3_3_6_3_wgs_162_tpt_162_halfLds_half_ip_CI_sbrr_dirReg ; -- Begin function fft_rtc_fwd_len1620_factors_10_3_3_6_3_wgs_162_tpt_162_halfLds_half_ip_CI_sbrr_dirReg
	.globl	fft_rtc_fwd_len1620_factors_10_3_3_6_3_wgs_162_tpt_162_halfLds_half_ip_CI_sbrr_dirReg
	.p2align	8
	.type	fft_rtc_fwd_len1620_factors_10_3_3_6_3_wgs_162_tpt_162_halfLds_half_ip_CI_sbrr_dirReg,@function
fft_rtc_fwd_len1620_factors_10_3_3_6_3_wgs_162_tpt_162_halfLds_half_ip_CI_sbrr_dirReg: ; @fft_rtc_fwd_len1620_factors_10_3_3_6_3_wgs_162_tpt_162_halfLds_half_ip_CI_sbrr_dirReg
; %bb.0:
	s_load_dwordx2 s[2:3], s[4:5], 0x18
	s_load_dwordx4 s[8:11], s[4:5], 0x0
	s_load_dwordx2 s[14:15], s[4:5], 0x50
	v_mul_u32_u24_e32 v1, 0x195, v0
	v_add_u32_sdwa v5, s6, v1 dst_sel:DWORD dst_unused:UNUSED_PAD src0_sel:DWORD src1_sel:WORD_1
	s_waitcnt lgkmcnt(0)
	s_load_dwordx2 s[12:13], s[2:3], 0x0
	v_cmp_lt_u64_e64 s[0:1], s[10:11], 2
	v_mov_b32_e32 v3, 0
	v_mov_b32_e32 v1, 0
	;; [unrolled: 1-line block ×3, first 2 shown]
	s_and_b64 vcc, exec, s[0:1]
	v_mov_b32_e32 v2, 0
	s_cbranch_vccnz .LBB0_8
; %bb.1:
	s_load_dwordx2 s[0:1], s[4:5], 0x10
	s_add_u32 s6, s2, 8
	s_addc_u32 s7, s3, 0
	v_mov_b32_e32 v1, 0
	v_mov_b32_e32 v2, 0
	s_waitcnt lgkmcnt(0)
	s_add_u32 s16, s0, 8
	s_addc_u32 s17, s1, 0
	s_mov_b64 s[18:19], 1
.LBB0_2:                                ; =>This Inner Loop Header: Depth=1
	s_load_dwordx2 s[20:21], s[16:17], 0x0
                                        ; implicit-def: $vgpr7_vgpr8
	s_waitcnt lgkmcnt(0)
	v_or_b32_e32 v4, s21, v6
	v_cmp_ne_u64_e32 vcc, 0, v[3:4]
	s_and_saveexec_b64 s[0:1], vcc
	s_xor_b64 s[22:23], exec, s[0:1]
	s_cbranch_execz .LBB0_4
; %bb.3:                                ;   in Loop: Header=BB0_2 Depth=1
	v_cvt_f32_u32_e32 v4, s20
	v_cvt_f32_u32_e32 v7, s21
	s_sub_u32 s0, 0, s20
	s_subb_u32 s1, 0, s21
	v_mac_f32_e32 v4, 0x4f800000, v7
	v_rcp_f32_e32 v4, v4
	v_mul_f32_e32 v4, 0x5f7ffffc, v4
	v_mul_f32_e32 v7, 0x2f800000, v4
	v_trunc_f32_e32 v7, v7
	v_mac_f32_e32 v4, 0xcf800000, v7
	v_cvt_u32_f32_e32 v7, v7
	v_cvt_u32_f32_e32 v4, v4
	v_mul_lo_u32 v8, s0, v7
	v_mul_hi_u32 v9, s0, v4
	v_mul_lo_u32 v11, s1, v4
	v_mul_lo_u32 v10, s0, v4
	v_add_u32_e32 v8, v9, v8
	v_add_u32_e32 v8, v8, v11
	v_mul_hi_u32 v9, v4, v10
	v_mul_lo_u32 v11, v4, v8
	v_mul_hi_u32 v13, v4, v8
	v_mul_hi_u32 v12, v7, v10
	v_mul_lo_u32 v10, v7, v10
	v_mul_hi_u32 v14, v7, v8
	v_add_co_u32_e32 v9, vcc, v9, v11
	v_addc_co_u32_e32 v11, vcc, 0, v13, vcc
	v_mul_lo_u32 v8, v7, v8
	v_add_co_u32_e32 v9, vcc, v9, v10
	v_addc_co_u32_e32 v9, vcc, v11, v12, vcc
	v_addc_co_u32_e32 v10, vcc, 0, v14, vcc
	v_add_co_u32_e32 v8, vcc, v9, v8
	v_addc_co_u32_e32 v9, vcc, 0, v10, vcc
	v_add_co_u32_e32 v4, vcc, v4, v8
	v_addc_co_u32_e32 v7, vcc, v7, v9, vcc
	v_mul_lo_u32 v8, s0, v7
	v_mul_hi_u32 v9, s0, v4
	v_mul_lo_u32 v10, s1, v4
	v_mul_lo_u32 v11, s0, v4
	v_add_u32_e32 v8, v9, v8
	v_add_u32_e32 v8, v8, v10
	v_mul_lo_u32 v12, v4, v8
	v_mul_hi_u32 v13, v4, v11
	v_mul_hi_u32 v14, v4, v8
	;; [unrolled: 1-line block ×3, first 2 shown]
	v_mul_lo_u32 v11, v7, v11
	v_mul_hi_u32 v9, v7, v8
	v_add_co_u32_e32 v12, vcc, v13, v12
	v_addc_co_u32_e32 v13, vcc, 0, v14, vcc
	v_mul_lo_u32 v8, v7, v8
	v_add_co_u32_e32 v11, vcc, v12, v11
	v_addc_co_u32_e32 v10, vcc, v13, v10, vcc
	v_addc_co_u32_e32 v9, vcc, 0, v9, vcc
	v_add_co_u32_e32 v8, vcc, v10, v8
	v_addc_co_u32_e32 v9, vcc, 0, v9, vcc
	v_add_co_u32_e32 v4, vcc, v4, v8
	v_addc_co_u32_e32 v9, vcc, v7, v9, vcc
	v_mad_u64_u32 v[7:8], s[0:1], v5, v9, 0
	v_mul_hi_u32 v10, v5, v4
	v_add_co_u32_e32 v11, vcc, v10, v7
	v_addc_co_u32_e32 v12, vcc, 0, v8, vcc
	v_mad_u64_u32 v[7:8], s[0:1], v6, v4, 0
	v_mad_u64_u32 v[9:10], s[0:1], v6, v9, 0
	v_add_co_u32_e32 v4, vcc, v11, v7
	v_addc_co_u32_e32 v4, vcc, v12, v8, vcc
	v_addc_co_u32_e32 v7, vcc, 0, v10, vcc
	v_add_co_u32_e32 v4, vcc, v4, v9
	v_addc_co_u32_e32 v9, vcc, 0, v7, vcc
	v_mul_lo_u32 v10, s21, v4
	v_mul_lo_u32 v11, s20, v9
	v_mad_u64_u32 v[7:8], s[0:1], s20, v4, 0
	v_add3_u32 v8, v8, v11, v10
	v_sub_u32_e32 v10, v6, v8
	v_mov_b32_e32 v11, s21
	v_sub_co_u32_e32 v7, vcc, v5, v7
	v_subb_co_u32_e64 v10, s[0:1], v10, v11, vcc
	v_subrev_co_u32_e64 v11, s[0:1], s20, v7
	v_subbrev_co_u32_e64 v10, s[0:1], 0, v10, s[0:1]
	v_cmp_le_u32_e64 s[0:1], s21, v10
	v_cndmask_b32_e64 v12, 0, -1, s[0:1]
	v_cmp_le_u32_e64 s[0:1], s20, v11
	v_cndmask_b32_e64 v11, 0, -1, s[0:1]
	v_cmp_eq_u32_e64 s[0:1], s21, v10
	v_cndmask_b32_e64 v10, v12, v11, s[0:1]
	v_add_co_u32_e64 v11, s[0:1], 2, v4
	v_addc_co_u32_e64 v12, s[0:1], 0, v9, s[0:1]
	v_add_co_u32_e64 v13, s[0:1], 1, v4
	v_addc_co_u32_e64 v14, s[0:1], 0, v9, s[0:1]
	v_subb_co_u32_e32 v8, vcc, v6, v8, vcc
	v_cmp_ne_u32_e64 s[0:1], 0, v10
	v_cmp_le_u32_e32 vcc, s21, v8
	v_cndmask_b32_e64 v10, v14, v12, s[0:1]
	v_cndmask_b32_e64 v12, 0, -1, vcc
	v_cmp_le_u32_e32 vcc, s20, v7
	v_cndmask_b32_e64 v7, 0, -1, vcc
	v_cmp_eq_u32_e32 vcc, s21, v8
	v_cndmask_b32_e32 v7, v12, v7, vcc
	v_cmp_ne_u32_e32 vcc, 0, v7
	v_cndmask_b32_e64 v7, v13, v11, s[0:1]
	v_cndmask_b32_e32 v8, v9, v10, vcc
	v_cndmask_b32_e32 v7, v4, v7, vcc
.LBB0_4:                                ;   in Loop: Header=BB0_2 Depth=1
	s_andn2_saveexec_b64 s[0:1], s[22:23]
	s_cbranch_execz .LBB0_6
; %bb.5:                                ;   in Loop: Header=BB0_2 Depth=1
	v_cvt_f32_u32_e32 v4, s20
	s_sub_i32 s22, 0, s20
	v_rcp_iflag_f32_e32 v4, v4
	v_mul_f32_e32 v4, 0x4f7ffffe, v4
	v_cvt_u32_f32_e32 v4, v4
	v_mul_lo_u32 v7, s22, v4
	v_mul_hi_u32 v7, v4, v7
	v_add_u32_e32 v4, v4, v7
	v_mul_hi_u32 v4, v5, v4
	v_mul_lo_u32 v7, v4, s20
	v_add_u32_e32 v8, 1, v4
	v_sub_u32_e32 v7, v5, v7
	v_subrev_u32_e32 v9, s20, v7
	v_cmp_le_u32_e32 vcc, s20, v7
	v_cndmask_b32_e32 v7, v7, v9, vcc
	v_cndmask_b32_e32 v4, v4, v8, vcc
	v_add_u32_e32 v8, 1, v4
	v_cmp_le_u32_e32 vcc, s20, v7
	v_cndmask_b32_e32 v7, v4, v8, vcc
	v_mov_b32_e32 v8, v3
.LBB0_6:                                ;   in Loop: Header=BB0_2 Depth=1
	s_or_b64 exec, exec, s[0:1]
	v_mul_lo_u32 v4, v8, s20
	v_mul_lo_u32 v11, v7, s21
	v_mad_u64_u32 v[9:10], s[0:1], v7, s20, 0
	s_load_dwordx2 s[0:1], s[6:7], 0x0
	s_add_u32 s18, s18, 1
	v_add3_u32 v4, v10, v11, v4
	v_sub_co_u32_e32 v5, vcc, v5, v9
	v_subb_co_u32_e32 v4, vcc, v6, v4, vcc
	s_waitcnt lgkmcnt(0)
	v_mul_lo_u32 v4, s0, v4
	v_mul_lo_u32 v6, s1, v5
	v_mad_u64_u32 v[1:2], s[0:1], s0, v5, v[1:2]
	s_addc_u32 s19, s19, 0
	s_add_u32 s6, s6, 8
	v_add3_u32 v2, v6, v2, v4
	v_mov_b32_e32 v4, s10
	v_mov_b32_e32 v5, s11
	s_addc_u32 s7, s7, 0
	v_cmp_ge_u64_e32 vcc, s[18:19], v[4:5]
	s_add_u32 s16, s16, 8
	s_addc_u32 s17, s17, 0
	s_cbranch_vccnz .LBB0_9
; %bb.7:                                ;   in Loop: Header=BB0_2 Depth=1
	v_mov_b32_e32 v5, v7
	v_mov_b32_e32 v6, v8
	s_branch .LBB0_2
.LBB0_8:
	v_mov_b32_e32 v8, v6
	v_mov_b32_e32 v7, v5
.LBB0_9:
	s_lshl_b64 s[0:1], s[10:11], 3
	s_add_u32 s0, s2, s0
	s_addc_u32 s1, s3, s1
	s_load_dwordx2 s[2:3], s[0:1], 0x0
	s_load_dwordx2 s[6:7], s[4:5], 0x20
                                        ; implicit-def: $vgpr6
	s_waitcnt lgkmcnt(0)
	v_mad_u64_u32 v[1:2], s[0:1], s2, v7, v[1:2]
	s_mov_b32 s0, 0x1948b10
	v_mul_lo_u32 v3, s2, v8
	v_mul_lo_u32 v4, s3, v7
	v_mul_hi_u32 v5, v0, s0
	v_cmp_gt_u64_e32 vcc, s[6:7], v[7:8]
	v_cmp_le_u64_e64 s[0:1], s[6:7], v[7:8]
	v_add3_u32 v2, v4, v2, v3
	v_mul_u32_u24_e32 v3, 0xa2, v5
	v_sub_u32_e32 v4, v0, v3
                                        ; implicit-def: $vgpr3
                                        ; implicit-def: $vgpr5
	s_and_saveexec_b64 s[2:3], s[0:1]
	s_xor_b64 s[0:1], exec, s[2:3]
; %bb.10:
	v_add_u32_e32 v6, 0xa2, v4
	v_add_u32_e32 v3, 0x144, v4
	;; [unrolled: 1-line block ×3, first 2 shown]
; %bb.11:
	s_or_saveexec_b64 s[2:3], s[0:1]
	v_lshlrev_b64 v[0:1], 2, v[1:2]
                                        ; implicit-def: $vgpr20
                                        ; implicit-def: $vgpr22
                                        ; implicit-def: $vgpr23
                                        ; implicit-def: $vgpr19
                                        ; implicit-def: $vgpr24
                                        ; implicit-def: $vgpr21
                                        ; implicit-def: $vgpr25
                                        ; implicit-def: $vgpr14
                                        ; implicit-def: $vgpr26
                                        ; implicit-def: $vgpr7
                                        ; implicit-def: $vgpr10
                                        ; implicit-def: $vgpr12
                                        ; implicit-def: $vgpr11
                                        ; implicit-def: $vgpr13
                                        ; implicit-def: $vgpr2
	s_xor_b64 exec, exec, s[2:3]
	s_cbranch_execz .LBB0_13
; %bb.12:
	v_mad_u64_u32 v[2:3], s[0:1], s12, v4, 0
	v_mov_b32_e32 v9, s15
	v_mad_u64_u32 v[5:6], s[0:1], s13, v4, v[3:4]
	v_add_u32_e32 v6, 0xa2, v4
	v_mad_u64_u32 v[7:8], s[0:1], s12, v6, 0
	v_mov_b32_e32 v3, v5
	v_add_co_u32_e64 v19, s[0:1], s14, v0
	v_addc_co_u32_e64 v20, s[0:1], v9, v1, s[0:1]
	v_lshlrev_b64 v[9:10], 2, v[2:3]
	v_mov_b32_e32 v2, v8
	v_mad_u64_u32 v[2:3], s[0:1], s13, v6, v[2:3]
	v_add_u32_e32 v3, 0x144, v4
	v_mad_u64_u32 v[11:12], s[0:1], s12, v3, 0
	v_add_co_u32_e64 v15, s[0:1], v19, v9
	v_mov_b32_e32 v8, v2
	v_mov_b32_e32 v2, v12
	v_add_u32_e32 v5, 0x1e6, v4
	v_addc_co_u32_e64 v16, s[0:1], v20, v10, s[0:1]
	v_mad_u64_u32 v[9:10], s[0:1], s13, v3, v[2:3]
	v_mad_u64_u32 v[13:14], s[0:1], s12, v5, 0
	v_lshlrev_b64 v[7:8], 2, v[7:8]
	v_mov_b32_e32 v12, v9
	v_add_co_u32_e64 v17, s[0:1], v19, v7
	v_mov_b32_e32 v2, v14
	v_addc_co_u32_e64 v18, s[0:1], v20, v8, s[0:1]
	v_lshlrev_b64 v[7:8], 2, v[11:12]
	v_mad_u64_u32 v[9:10], s[0:1], s13, v5, v[2:3]
	v_add_u32_e32 v12, 0x288, v4
	v_mad_u64_u32 v[10:11], s[0:1], s12, v12, 0
	v_add_co_u32_e64 v23, s[0:1], v19, v7
	v_mov_b32_e32 v2, v11
	v_addc_co_u32_e64 v24, s[0:1], v20, v8, s[0:1]
	v_mov_b32_e32 v14, v9
	v_mad_u64_u32 v[11:12], s[0:1], s13, v12, v[2:3]
	v_add_u32_e32 v9, 0x32a, v4
	v_lshlrev_b64 v[7:8], 2, v[13:14]
	v_mad_u64_u32 v[12:13], s[0:1], s12, v9, 0
	v_add_co_u32_e64 v25, s[0:1], v19, v7
	v_mov_b32_e32 v2, v13
	v_addc_co_u32_e64 v26, s[0:1], v20, v8, s[0:1]
	v_lshlrev_b64 v[7:8], 2, v[10:11]
	v_mad_u64_u32 v[9:10], s[0:1], s13, v9, v[2:3]
	v_add_u32_e32 v14, 0x3cc, v4
	v_mad_u64_u32 v[10:11], s[0:1], s12, v14, 0
	v_add_co_u32_e64 v27, s[0:1], v19, v7
	v_mov_b32_e32 v13, v9
	v_mov_b32_e32 v2, v11
	v_addc_co_u32_e64 v28, s[0:1], v20, v8, s[0:1]
	v_lshlrev_b64 v[7:8], 2, v[12:13]
	v_mad_u64_u32 v[11:12], s[0:1], s13, v14, v[2:3]
	v_add_u32_e32 v9, 0x46e, v4
	v_mad_u64_u32 v[12:13], s[0:1], s12, v9, 0
	v_add_co_u32_e64 v29, s[0:1], v19, v7
	v_mov_b32_e32 v2, v13
	v_addc_co_u32_e64 v30, s[0:1], v20, v8, s[0:1]
	v_lshlrev_b64 v[7:8], 2, v[10:11]
	v_mad_u64_u32 v[9:10], s[0:1], s13, v9, v[2:3]
	v_add_u32_e32 v14, 0x510, v4
	v_mad_u64_u32 v[10:11], s[0:1], s12, v14, 0
	v_add_co_u32_e64 v31, s[0:1], v19, v7
	v_mov_b32_e32 v13, v9
	v_mov_b32_e32 v2, v11
	v_addc_co_u32_e64 v32, s[0:1], v20, v8, s[0:1]
	v_lshlrev_b64 v[7:8], 2, v[12:13]
	v_mad_u64_u32 v[11:12], s[0:1], s13, v14, v[2:3]
	v_add_u32_e32 v9, 0x5b2, v4
	v_mad_u64_u32 v[12:13], s[0:1], s12, v9, 0
	v_add_co_u32_e64 v33, s[0:1], v19, v7
	v_mov_b32_e32 v2, v13
	v_addc_co_u32_e64 v34, s[0:1], v20, v8, s[0:1]
	v_lshlrev_b64 v[7:8], 2, v[10:11]
	v_mad_u64_u32 v[9:10], s[0:1], s13, v9, v[2:3]
	v_add_co_u32_e64 v35, s[0:1], v19, v7
	v_mov_b32_e32 v13, v9
	v_addc_co_u32_e64 v36, s[0:1], v20, v8, s[0:1]
	v_lshlrev_b64 v[7:8], 2, v[12:13]
	v_add_co_u32_e64 v37, s[0:1], v19, v7
	v_addc_co_u32_e64 v38, s[0:1], v20, v8, s[0:1]
	global_load_dword v7, v[15:16], off
	global_load_dword v14, v[23:24], off
	;; [unrolled: 1-line block ×10, first 2 shown]
	s_waitcnt vmcnt(9)
	v_lshrrev_b32_e32 v26, 16, v7
	s_waitcnt vmcnt(8)
	v_lshrrev_b32_e32 v25, 16, v14
	;; [unrolled: 2-line block ×5, first 2 shown]
.LBB0_13:
	s_or_b64 exec, exec, s[2:3]
	v_sub_f16_e32 v15, v14, v21
	v_sub_f16_e32 v16, v22, v19
	v_add_f16_e32 v15, v16, v15
	v_add_f16_e32 v16, v22, v14
	s_movk_i32 s6, 0x3b9c
	v_sub_f16_e32 v9, v24, v23
	s_mov_b32 s7, 0xbb9c
	v_fma_f16 v16, v16, -0.5, v7
	v_sub_f16_e32 v18, v21, v14
	v_sub_f16_e32 v27, v19, v22
	;; [unrolled: 1-line block ×3, first 2 shown]
	s_movk_i32 s5, 0x38b4
	s_mov_b32 s4, 0xb8b4
	v_fma_f16 v17, v9, s7, v16
	v_add_f16_e32 v18, v27, v18
	v_fma_f16 v16, v9, s6, v16
	v_pk_add_f16 v27, v13, v11 neg_lo:[0,1] neg_hi:[0,1]
	s_waitcnt vmcnt(0)
	v_pk_add_f16 v28, v12, v10 neg_lo:[0,1] neg_hi:[0,1]
	v_sub_f16_sdwa v29, v13, v11 dst_sel:DWORD dst_unused:UNUSED_PAD src0_sel:WORD_1 src1_sel:WORD_1
	v_sub_f16_sdwa v30, v12, v10 dst_sel:DWORD dst_unused:UNUSED_PAD src0_sel:WORD_1 src1_sel:WORD_1
	s_movk_i32 s10, 0x34f2
	v_fma_f16 v17, v8, s5, v17
	v_fma_f16 v16, v8, s4, v16
	v_pk_add_f16 v27, v28, v27
	v_pk_add_f16 v28, v11, v13 neg_lo:[0,1] neg_hi:[0,1]
	v_add_f16_e32 v29, v30, v29
	v_pk_add_f16 v30, v10, v12 neg_lo:[0,1] neg_hi:[0,1]
	v_fma_f16 v17, v18, s10, v17
	v_fma_f16 v16, v18, s10, v16
	v_pk_add_f16 v18, v11, v10 neg_lo:[0,1] neg_hi:[0,1]
	v_pk_add_f16 v28, v30, v28
	v_pk_add_f16 v30, v12, v13
	v_pk_fma_f16 v30, v30, -0.5, v2 op_sel_hi:[1,0,1]
	v_pk_mul_f16 v31, v18, s6 op_sel_hi:[1,0]
	v_pk_add_f16 v32, v31, v30 op_sel:[1,0] op_sel_hi:[0,1]
	v_pk_add_f16 v30, v30, v31 op_sel:[0,1] op_sel_hi:[1,0] neg_lo:[0,1] neg_hi:[0,1]
	v_pk_add_f16 v31, v13, v12 neg_lo:[0,1] neg_hi:[0,1]
	v_pk_mul_f16 v33, v31, s5 op_sel_hi:[1,0]
	v_pk_add_f16 v32, v32, v33 op_sel:[0,1] op_sel_hi:[1,0] neg_lo:[0,1] neg_hi:[0,1]
	v_pk_add_f16 v30, v33, v30 op_sel:[1,0] op_sel_hi:[0,1]
	v_pk_fma_f16 v35, v28, s10, v32 op_sel_hi:[1,0,1]
	v_pk_fma_f16 v36, v28, s10, v30 op_sel_hi:[1,0,1]
	v_mul_f16_e32 v28, 0x34f2, v36
	v_lshrrev_b32_e32 v30, 16, v35
	v_add_f16_e32 v37, v13, v2
	v_fma_f16 v28, v30, s6, v28
	v_mul_f16_e32 v30, 0x34f2, v35
	v_lshrrev_b32_e32 v32, 16, v36
	v_add_f16_e32 v37, v11, v37
	v_fma_f16 v30, v32, s6, -v30
	v_add_f16_e32 v37, v10, v37
	v_add_f16_e32 v32, v17, v28
	;; [unrolled: 1-line block ×5, first 2 shown]
	s_mov_b32 s11, 0xffff
	v_pack_b32_f16 v32, v32, v33
	v_add_f16_e32 v33, v19, v21
	v_fma_f16 v41, v37, -0.5, v2
	v_bfi_b32 v27, s11, v27, v18
	s_mov_b32 s0, 0x38b434f2
	v_lshrrev_b32_e32 v42, 16, v31
	v_fma_f16 v33, v33, -0.5, v7
	v_pk_mul_f16 v27, v27, s0
	v_fma_f16 v37, v42, s6, v41
	v_lshrrev_b32_e32 v40, 16, v2
	v_add_f16_sdwa v2, v10, v11 dst_sel:DWORD dst_unused:UNUSED_PAD src0_sel:WORD_1 src1_sel:WORD_1
	v_fma_f16 v34, v8, s6, v33
	v_add_f16_sdwa v37, v27, v37 dst_sel:DWORD dst_unused:UNUSED_PAD src0_sel:WORD_1 src1_sel:DWORD
	v_fma_f16 v2, v2, -0.5, v40
	v_fma_f16 v8, v8, s7, v33
	v_add_f16_e32 v7, v14, v7
	v_fma_f16 v34, v9, s5, v34
	v_add_f16_e32 v38, v27, v37
	v_fma_f16 v37, v31, s7, v2
	v_fma_f16 v8, v9, s4, v8
	;; [unrolled: 1-line block ×3, first 2 shown]
	v_add_f16_e32 v7, v21, v7
	v_fma_f16 v37, v18, s4, v37
	v_sub_f16_sdwa v9, v9, v27 dst_sel:DWORD dst_unused:UNUSED_PAD src0_sel:DWORD src1_sel:WORD_1
	v_fma_f16 v2, v31, s6, v2
	v_add_f16_e32 v7, v19, v7
	v_fma_f16 v39, v29, s10, v37
	v_mul_f16_e32 v37, 0x3a79, v38
	v_add_f16_e32 v41, v27, v9
	v_fma_f16 v2, v18, s5, v2
	v_add_f16_e32 v7, v22, v7
	v_fma_f16 v34, v15, s10, v34
	v_fma_f16 v44, v39, s5, v37
	v_fma_f16 v8, v15, s10, v8
	v_fma_f16 v42, v29, s10, v2
	v_mul_f16_e32 v15, 0x3a79, v41
	v_add_f16_e32 v37, v43, v7
	v_add_f16_e32 v45, v34, v44
	v_fma_f16 v15, v42, s5, -v15
	v_pack_b32_f16 v45, v37, v45
	v_mul_u32_u24_e32 v37, 10, v4
	v_sub_f16_e32 v2, v7, v43
	v_sub_f16_e32 v7, v34, v44
	;; [unrolled: 1-line block ×3, first 2 shown]
	v_add_f16_e32 v17, v8, v15
	v_lshl_add_u32 v37, v37, 1, 0
	v_sub_f16_e32 v16, v16, v30
	v_sub_f16_e32 v15, v8, v15
	v_pack_b32_f16 v7, v7, v9
	v_pack_b32_f16 v2, v17, v2
	ds_write2_b32 v37, v2, v7 offset0:2 offset1:3
	v_pack_b32_f16 v2, v16, v15
	s_movk_i32 s0, 0xffee
	ds_write_b32 v37, v2 offset:16
	v_mad_i32_i24 v2, v4, s0, v37
	v_lshl_add_u32 v9, v3, 1, 0
	ds_write2_b32 v37, v45, v32 offset1:1
	s_waitcnt lgkmcnt(0)
	s_barrier
	v_lshl_add_u32 v7, v6, 1, 0
	ds_read_u16 v16, v2
	ds_read_u16 v34, v2 offset:1080
	ds_read_u16 v32, v2 offset:1404
	ds_read_u16 v17, v9
	ds_read_u16 v18, v7
	ds_read_u16 v27, v2 offset:2808
	ds_read_u16 v31, v2 offset:2484
	;; [unrolled: 1-line block ×4, first 2 shown]
	s_movk_i32 s16, 0x3a79
	v_cmp_gt_u32_e64 s[0:1], 54, v4
	v_lshl_add_u32 v8, v5, 1, 0
                                        ; implicit-def: $vgpr29
                                        ; implicit-def: $vgpr30
	s_and_saveexec_b64 s[2:3], s[0:1]
	s_cbranch_execz .LBB0_15
; %bb.14:
	ds_read_u16 v30, v2 offset:2052
	ds_read_u16 v15, v8
	ds_read_u16 v29, v2 offset:3132
.LBB0_15:
	s_or_b64 exec, exec, s[2:3]
	v_add_f16_e32 v44, v23, v24
	v_fma_f16 v44, v44, -0.5, v26
	v_sub_f16_e32 v14, v14, v22
	v_fma_f16 v22, v14, s7, v44
	v_sub_f16_e32 v19, v21, v19
	v_fma_f16 v21, v19, s4, v22
	v_sub_f16_e32 v22, v25, v24
	v_sub_f16_e32 v45, v20, v23
	v_fma_f16 v44, v14, s6, v44
	v_add_f16_e32 v43, v25, v26
	v_add_f16_e32 v22, v45, v22
	v_fma_f16 v44, v19, s5, v44
	v_add_f16_e32 v43, v24, v43
	v_fma_f16 v21, v22, s10, v21
	v_fma_f16 v22, v22, s10, v44
	v_add_f16_e32 v44, v20, v25
	v_add_f16_e32 v43, v23, v43
	v_fma_f16 v26, v44, -0.5, v26
	v_add_f16_e32 v43, v20, v43
	v_fma_f16 v44, v19, s6, v26
	v_sub_f16_e32 v24, v24, v25
	v_sub_f16_e32 v20, v23, v20
	v_fma_f16 v19, v19, s7, v26
	v_add_f16_sdwa v13, v13, v40 dst_sel:DWORD dst_unused:UNUSED_PAD src0_sel:WORD_1 src1_sel:DWORD
	v_fma_f16 v44, v14, s4, v44
	v_add_f16_e32 v20, v20, v24
	v_fma_f16 v14, v14, s5, v19
	v_add_f16_sdwa v11, v11, v13 dst_sel:DWORD dst_unused:UNUSED_PAD src0_sel:WORD_1 src1_sel:DWORD
	s_mov_b32 s3, 0x34f23b9c
	v_mul_f16_e32 v20, 0x34f2, v20
	v_add_f16_sdwa v10, v10, v11 dst_sel:DWORD dst_unused:UNUSED_PAD src0_sel:WORD_1 src1_sel:DWORD
	v_mul_f16_e32 v11, 0xb8b4, v38
	v_pack_b32_f16 v14, v14, v44
	s_mov_b32 s2, 0x34f2bb9c
	v_pk_mul_f16 v19, v36, s3
	v_mul_f16_e32 v23, 0x3a79, v42
	v_add_f16_sdwa v10, v12, v10 dst_sel:DWORD dst_unused:UNUSED_PAD src0_sel:WORD_1 src1_sel:DWORD
	v_fma_f16 v11, v39, s16, v11
	v_pk_add_f16 v14, v20, v14 op_sel_hi:[0,1]
	v_pk_fma_f16 v19, v35, s2, v19 op_sel:[0,0,1] op_sel_hi:[1,1,0] neg_lo:[0,0,1] neg_hi:[0,0,1]
	v_fma_f16 v23, v41, s4, -v23
	v_add_f16_e32 v12, v10, v43
	v_add_f16_e32 v13, v21, v11
	;; [unrolled: 1-line block ×3, first 2 shown]
	v_sub_f16_e32 v10, v43, v10
	v_bfi_b32 v21, s11, v21, v14
	v_bfi_b32 v11, s11, v11, v19
	v_pk_add_f16 v20, v14, v19
	v_pk_add_f16 v21, v21, v11 neg_lo:[0,1] neg_hi:[0,1]
	v_sub_f16_e32 v14, v14, v19
	v_sub_f16_e32 v11, v22, v23
	v_pack_b32_f16 v10, v24, v10
	s_waitcnt lgkmcnt(0)
	s_barrier
	v_alignbit_b32 v19, v20, v20, 16
	v_pack_b32_f16 v12, v12, v13
	ds_write2_b32 v37, v10, v21 offset0:2 offset1:3
	v_pack_b32_f16 v10, v14, v11
	ds_write2_b32 v37, v12, v19 offset1:1
	ds_write_b32 v37, v10 offset:16
	s_waitcnt lgkmcnt(0)
	s_barrier
	ds_read_u16 v14, v2
	ds_read_u16 v21, v2 offset:1080
	ds_read_u16 v25, v2 offset:1404
	;; [unrolled: 1-line block ×3, first 2 shown]
	ds_read_u16 v12, v9
	ds_read_u16 v13, v7
	ds_read_u16 v10, v2 offset:2808
	ds_read_u16 v23, v2 offset:2160
	;; [unrolled: 1-line block ×3, first 2 shown]
                                        ; implicit-def: $vgpr19
                                        ; implicit-def: $vgpr36
	s_and_saveexec_b64 s[2:3], s[0:1]
	s_cbranch_execz .LBB0_17
; %bb.16:
	ds_read_u16 v36, v2 offset:2052
	ds_read_u16 v11, v8
	ds_read_u16 v19, v2 offset:3132
.LBB0_17:
	s_or_b64 exec, exec, s[2:3]
	s_movk_i32 s2, 0xcd
	v_mul_lo_u16_sdwa v20, v4, s2 dst_sel:DWORD dst_unused:UNUSED_PAD src0_sel:BYTE_0 src1_sel:DWORD
	v_lshrrev_b16_e32 v46, 11, v20
	v_mul_lo_u16_e32 v20, 10, v46
	s_mov_b32 s2, 0xcccd
	v_sub_u16_e32 v20, v4, v20
	v_mov_b32_e32 v22, 3
	v_mul_u32_u24_sdwa v24, v6, s2 dst_sel:DWORD dst_unused:UNUSED_PAD src0_sel:WORD_0 src1_sel:DWORD
	v_lshlrev_b32_sdwa v22, v22, v20 dst_sel:DWORD dst_unused:UNUSED_PAD src0_sel:DWORD src1_sel:BYTE_0
	v_lshrrev_b32_e32 v47, 19, v24
	global_load_dwordx2 v[38:39], v22, s[8:9]
	v_mul_lo_u16_e32 v22, 10, v47
	v_sub_u16_e32 v22, v6, v22
	v_lshlrev_b32_e32 v24, 3, v22
	global_load_dwordx2 v[40:41], v24, s[8:9]
	v_mul_u32_u24_sdwa v24, v3, s2 dst_sel:DWORD dst_unused:UNUSED_PAD src0_sel:WORD_0 src1_sel:DWORD
	v_lshrrev_b32_e32 v48, 19, v24
	v_mul_lo_u16_e32 v24, 10, v48
	v_sub_u16_e32 v24, v3, v24
	v_lshlrev_b32_e32 v26, 3, v24
	global_load_dwordx2 v[42:43], v26, s[8:9]
	v_mul_u32_u24_sdwa v26, v5, s2 dst_sel:DWORD dst_unused:UNUSED_PAD src0_sel:WORD_0 src1_sel:DWORD
	v_lshrrev_b32_e32 v49, 19, v26
	v_mul_lo_u16_e32 v26, 10, v49
	v_sub_u16_e32 v50, v5, v26
	v_lshlrev_b32_e32 v26, 3, v50
	global_load_dwordx2 v[44:45], v26, s[8:9]
	v_mov_b32_e32 v26, 1
	v_lshlrev_b32_sdwa v51, v26, v20 dst_sel:DWORD dst_unused:UNUSED_PAD src0_sel:DWORD src1_sel:BYTE_0
	v_lshlrev_b32_e32 v52, 1, v22
	v_lshlrev_b32_e32 v53, 1, v24
	s_movk_i32 s2, 0x3aee
	s_mov_b32 s3, 0xbaee
	s_waitcnt vmcnt(0) lgkmcnt(0)
	s_barrier
	v_mul_f16_sdwa v20, v21, v38 dst_sel:DWORD dst_unused:UNUSED_PAD src0_sel:DWORD src1_sel:WORD_1
	v_mul_f16_sdwa v22, v34, v38 dst_sel:DWORD dst_unused:UNUSED_PAD src0_sel:DWORD src1_sel:WORD_1
	;; [unrolled: 1-line block ×4, first 2 shown]
	v_fma_f16 v20, v34, v38, -v20
	v_mul_f16_sdwa v34, v25, v40 dst_sel:DWORD dst_unused:UNUSED_PAD src0_sel:DWORD src1_sel:WORD_1
	v_fma_f16 v21, v21, v38, v22
	v_mul_f16_sdwa v38, v32, v40 dst_sel:DWORD dst_unused:UNUSED_PAD src0_sel:DWORD src1_sel:WORD_1
	v_fma_f16 v22, v33, v39, -v24
	v_mul_f16_sdwa v33, v37, v41 dst_sel:DWORD dst_unused:UNUSED_PAD src0_sel:DWORD src1_sel:WORD_1
	v_fma_f16 v24, v23, v39, v26
	v_mul_f16_sdwa v39, v31, v41 dst_sel:DWORD dst_unused:UNUSED_PAD src0_sel:DWORD src1_sel:WORD_1
	v_mul_f16_sdwa v54, v35, v42 dst_sel:DWORD dst_unused:UNUSED_PAD src0_sel:DWORD src1_sel:WORD_1
	;; [unrolled: 1-line block ×4, first 2 shown]
	v_fma_f16 v23, v32, v40, -v34
	v_fma_f16 v25, v25, v40, v38
	v_mul_f16_sdwa v38, v27, v43 dst_sel:DWORD dst_unused:UNUSED_PAD src0_sel:DWORD src1_sel:WORD_1
	v_fma_f16 v26, v31, v41, -v33
	v_fma_f16 v31, v37, v41, v39
	v_mul_f16_sdwa v39, v19, v45 dst_sel:DWORD dst_unused:UNUSED_PAD src0_sel:DWORD src1_sel:WORD_1
	v_mul_f16_sdwa v41, v29, v45 dst_sel:DWORD dst_unused:UNUSED_PAD src0_sel:DWORD src1_sel:WORD_1
	v_fma_f16 v32, v28, v42, -v54
	v_fma_f16 v33, v27, v43, -v56
	v_mul_f16_sdwa v40, v36, v44 dst_sel:DWORD dst_unused:UNUSED_PAD src0_sel:DWORD src1_sel:WORD_1
	v_mul_f16_sdwa v37, v30, v44 dst_sel:DWORD dst_unused:UNUSED_PAD src0_sel:DWORD src1_sel:WORD_1
	v_fma_f16 v34, v35, v42, v55
	v_fma_f16 v35, v10, v43, v38
	v_fma_f16 v28, v29, v45, -v39
	v_fma_f16 v29, v19, v45, v41
	v_add_f16_e32 v38, v23, v26
	v_add_f16_e32 v41, v32, v33
	v_fma_f16 v27, v30, v44, -v40
	v_fma_f16 v30, v36, v44, v37
	v_add_f16_e32 v19, v20, v22
	v_add_f16_e32 v37, v18, v23
	v_sub_f16_e32 v39, v25, v31
	v_add_f16_e32 v40, v17, v32
	v_sub_f16_e32 v42, v34, v35
	v_fma_f16 v18, v38, -0.5, v18
	v_fma_f16 v17, v41, -0.5, v17
	v_add_f16_e32 v10, v16, v20
	v_sub_f16_e32 v36, v21, v24
	v_fma_f16 v16, v19, -0.5, v16
	v_add_f16_e32 v19, v37, v26
	v_add_f16_e32 v37, v40, v33
	v_fma_f16 v40, v39, s2, v18
	v_fma_f16 v18, v39, s3, v18
	;; [unrolled: 1-line block ×4, first 2 shown]
	v_mul_u32_u24_e32 v17, 60, v46
	v_add_f16_e32 v44, v27, v28
	v_add_f16_e32 v54, v10, v22
	v_fma_f16 v38, v36, s2, v16
	v_fma_f16 v36, v36, s3, v16
	v_add3_u32 v17, 0, v17, v51
	v_add_f16_e32 v43, v15, v27
	v_sub_f16_e32 v45, v30, v29
	v_fma_f16 v15, v44, -0.5, v15
	ds_write_b16 v17, v54
	ds_write_b16 v17, v38 offset:20
	ds_write_b16 v17, v36 offset:40
	v_mul_u32_u24_e32 v36, 60, v47
	v_fma_f16 v16, v45, s2, v15
	v_fma_f16 v15, v45, s3, v15
	v_add3_u32 v45, 0, v36, v52
	ds_write_b16 v45, v19
	ds_write_b16 v45, v40 offset:20
	ds_write_b16 v45, v18 offset:40
	v_mul_u32_u24_e32 v18, 60, v48
	v_add_f16_e32 v10, v43, v28
	v_add3_u32 v46, 0, v18, v53
	v_mul_lo_u16_e32 v43, 30, v49
	v_lshlrev_b32_e32 v44, 1, v50
	ds_write_b16 v46, v37
	ds_write_b16 v46, v39 offset:20
	ds_write_b16 v46, v41 offset:40
	s_and_saveexec_b64 s[2:3], s[0:1]
	s_cbranch_execz .LBB0_19
; %bb.18:
	v_lshlrev_b32_e32 v18, 1, v43
	v_add3_u32 v18, 0, v44, v18
	ds_write_b16 v18, v10
	ds_write_b16 v18, v16 offset:20
	ds_write_b16 v18, v15 offset:40
.LBB0_19:
	s_or_b64 exec, exec, s[2:3]
	s_waitcnt lgkmcnt(0)
	s_barrier
	ds_read_u16 v36, v2
	ds_read_u16 v41, v2 offset:1080
	ds_read_u16 v40, v2 offset:1404
	;; [unrolled: 1-line block ×3, first 2 shown]
	ds_read_u16 v18, v9
	ds_read_u16 v19, v7
	ds_read_u16 v37, v2 offset:2808
	ds_read_u16 v42, v2 offset:2160
	;; [unrolled: 1-line block ×3, first 2 shown]
	s_and_saveexec_b64 s[2:3], s[0:1]
	s_cbranch_execz .LBB0_21
; %bb.20:
	ds_read_u16 v16, v2 offset:2052
	ds_read_u16 v10, v8
	ds_read_u16 v15, v2 offset:3132
.LBB0_21:
	s_or_b64 exec, exec, s[2:3]
	v_add_f16_e32 v47, v14, v21
	v_add_f16_e32 v21, v21, v24
	v_fma_f16 v14, v21, -0.5, v14
	v_sub_f16_e32 v20, v20, v22
	s_mov_b32 s2, 0xbaee
	s_movk_i32 s3, 0x3aee
	v_add_f16_e32 v21, v25, v31
	v_fma_f16 v22, v20, s2, v14
	v_fma_f16 v14, v20, s3, v14
	v_add_f16_e32 v20, v13, v25
	v_fma_f16 v13, v21, -0.5, v13
	v_sub_f16_e32 v21, v23, v26
	v_fma_f16 v23, v21, s2, v13
	v_fma_f16 v13, v21, s3, v13
	v_add_f16_e32 v21, v12, v34
	v_add_f16_e32 v47, v47, v24
	;; [unrolled: 1-line block ×4, first 2 shown]
	v_fma_f16 v12, v21, -0.5, v12
	v_sub_f16_e32 v21, v32, v33
	v_fma_f16 v25, v21, s2, v12
	v_fma_f16 v26, v21, s3, v12
	v_add_f16_e32 v21, v30, v29
	v_add_f16_e32 v12, v11, v30
	v_fma_f16 v11, v21, -0.5, v11
	v_sub_f16_e32 v27, v27, v28
	v_add_f16_e32 v12, v12, v29
	v_fma_f16 v21, v27, s2, v11
	v_fma_f16 v11, v27, s3, v11
	v_add_f16_e32 v20, v20, v31
	s_waitcnt lgkmcnt(0)
	s_barrier
	ds_write_b16 v17, v47
	ds_write_b16 v17, v22 offset:20
	ds_write_b16 v17, v14 offset:40
	ds_write_b16 v45, v20
	ds_write_b16 v45, v23 offset:20
	ds_write_b16 v45, v13 offset:40
	;; [unrolled: 3-line block ×3, first 2 shown]
	s_and_saveexec_b64 s[2:3], s[0:1]
	s_cbranch_execz .LBB0_23
; %bb.22:
	v_lshlrev_b32_e32 v13, 1, v43
	v_add3_u32 v13, 0, v44, v13
	ds_write_b16 v13, v12
	ds_write_b16 v13, v21 offset:20
	ds_write_b16 v13, v11 offset:40
.LBB0_23:
	s_or_b64 exec, exec, s[2:3]
	s_waitcnt lgkmcnt(0)
	s_barrier
	ds_read_u16 v17, v2
	ds_read_u16 v22, v2 offset:1080
	ds_read_u16 v26, v2 offset:1404
	;; [unrolled: 1-line block ×3, first 2 shown]
	ds_read_u16 v14, v9
	ds_read_u16 v13, v7
	ds_read_u16 v29, v2 offset:2808
	ds_read_u16 v24, v2 offset:2160
	;; [unrolled: 1-line block ×3, first 2 shown]
	s_and_saveexec_b64 s[2:3], s[0:1]
	s_cbranch_execz .LBB0_25
; %bb.24:
	ds_read_u16 v21, v2 offset:2052
	ds_read_u16 v12, v8
	ds_read_u16 v11, v2 offset:3132
.LBB0_25:
	s_or_b64 exec, exec, s[2:3]
	s_movk_i32 s2, 0x89
	v_mul_lo_u16_sdwa v20, v4, s2 dst_sel:DWORD dst_unused:UNUSED_PAD src0_sel:BYTE_0 src1_sel:DWORD
	v_lshrrev_b16_e32 v43, 12, v20
	v_mul_lo_u16_e32 v20, 30, v43
	v_sub_u16_e32 v20, v4, v20
	v_mov_b32_e32 v23, 1
	v_lshlrev_b32_sdwa v44, v23, v20 dst_sel:DWORD dst_unused:UNUSED_PAD src0_sel:DWORD src1_sel:BYTE_0
	v_mov_b32_e32 v23, 3
	v_lshlrev_b32_sdwa v20, v23, v20 dst_sel:DWORD dst_unused:UNUSED_PAD src0_sel:DWORD src1_sel:BYTE_0
	global_load_dwordx2 v[32:33], v20, s[8:9] offset:80
	s_mov_b32 s2, 0x8889
	s_mov_b32 s3, 0xbaee
	v_mul_u32_u24_e32 v43, 0xb4, v43
	v_add3_u32 v44, 0, v43, v44
	s_waitcnt vmcnt(0)
	v_mul_f16_sdwa v23, v41, v32 dst_sel:DWORD dst_unused:UNUSED_PAD src0_sel:DWORD src1_sel:WORD_1
	v_mul_f16_sdwa v25, v42, v33 dst_sel:DWORD dst_unused:UNUSED_PAD src0_sel:DWORD src1_sel:WORD_1
	s_waitcnt lgkmcnt(7)
	v_mul_f16_sdwa v20, v22, v32 dst_sel:DWORD dst_unused:UNUSED_PAD src0_sel:DWORD src1_sel:WORD_1
	v_fma_f16 v22, v22, v32, v23
	s_waitcnt lgkmcnt(1)
	v_mul_f16_sdwa v23, v24, v33 dst_sel:DWORD dst_unused:UNUSED_PAD src0_sel:DWORD src1_sel:WORD_1
	v_fma_f16 v24, v24, v33, v25
	v_mul_u32_u24_sdwa v25, v6, s2 dst_sel:DWORD dst_unused:UNUSED_PAD src0_sel:WORD_0 src1_sel:DWORD
	v_lshrrev_b32_e32 v45, 20, v25
	v_mul_lo_u16_e32 v25, 30, v45
	v_sub_u16_e32 v25, v6, v25
	v_lshlrev_b32_e32 v46, 1, v25
	v_lshlrev_b32_e32 v25, 3, v25
	v_fma_f16 v20, v41, v32, -v20
	v_fma_f16 v23, v42, v33, -v23
	global_load_dwordx2 v[32:33], v25, s[8:9] offset:80
	s_waitcnt vmcnt(0)
	v_mul_f16_sdwa v27, v40, v32 dst_sel:DWORD dst_unused:UNUSED_PAD src0_sel:DWORD src1_sel:WORD_1
	v_mul_f16_sdwa v30, v39, v33 dst_sel:DWORD dst_unused:UNUSED_PAD src0_sel:DWORD src1_sel:WORD_1
	;; [unrolled: 1-line block ×3, first 2 shown]
	v_fma_f16 v26, v26, v32, v27
	v_mul_f16_sdwa v27, v28, v33 dst_sel:DWORD dst_unused:UNUSED_PAD src0_sel:DWORD src1_sel:WORD_1
	v_fma_f16 v28, v28, v33, v30
	v_mul_u32_u24_sdwa v30, v3, s2 dst_sel:DWORD dst_unused:UNUSED_PAD src0_sel:WORD_0 src1_sel:DWORD
	v_lshrrev_b32_e32 v47, 20, v30
	v_mul_lo_u16_e32 v30, 30, v47
	v_sub_u16_e32 v30, v3, v30
	v_lshlrev_b32_e32 v48, 1, v30
	v_lshlrev_b32_e32 v30, 3, v30
	v_fma_f16 v25, v40, v32, -v25
	v_fma_f16 v27, v39, v33, -v27
	global_load_dwordx2 v[32:33], v30, s[8:9] offset:80
	s_waitcnt vmcnt(0) lgkmcnt(0)
	v_mul_f16_sdwa v30, v31, v32 dst_sel:DWORD dst_unused:UNUSED_PAD src0_sel:DWORD src1_sel:WORD_1
	v_mul_f16_sdwa v34, v38, v32 dst_sel:DWORD dst_unused:UNUSED_PAD src0_sel:DWORD src1_sel:WORD_1
	v_fma_f16 v30, v38, v32, -v30
	v_fma_f16 v31, v31, v32, v34
	v_mul_f16_sdwa v32, v29, v33 dst_sel:DWORD dst_unused:UNUSED_PAD src0_sel:DWORD src1_sel:WORD_1
	v_mul_f16_sdwa v34, v37, v33 dst_sel:DWORD dst_unused:UNUSED_PAD src0_sel:DWORD src1_sel:WORD_1
	v_fma_f16 v32, v37, v33, -v32
	v_fma_f16 v33, v29, v33, v34
	v_mul_u32_u24_sdwa v29, v5, s2 dst_sel:DWORD dst_unused:UNUSED_PAD src0_sel:WORD_0 src1_sel:DWORD
	v_lshrrev_b32_e32 v29, 20, v29
	v_mul_lo_u16_e32 v34, 30, v29
	v_sub_u16_e32 v37, v5, v34
	v_lshlrev_b32_e32 v34, 3, v37
	global_load_dwordx2 v[34:35], v34, s[8:9] offset:80
	s_movk_i32 s2, 0x3aee
	s_waitcnt vmcnt(0)
	s_barrier
	v_lshlrev_b32_e32 v43, 1, v37
	v_mul_f16_sdwa v38, v21, v34 dst_sel:DWORD dst_unused:UNUSED_PAD src0_sel:DWORD src1_sel:WORD_1
	v_fma_f16 v39, v16, v34, -v38
	v_mul_f16_sdwa v16, v16, v34 dst_sel:DWORD dst_unused:UNUSED_PAD src0_sel:DWORD src1_sel:WORD_1
	v_fma_f16 v40, v21, v34, v16
	v_mul_f16_sdwa v16, v11, v35 dst_sel:DWORD dst_unused:UNUSED_PAD src0_sel:DWORD src1_sel:WORD_1
	v_fma_f16 v41, v15, v35, -v16
	v_mul_f16_sdwa v15, v15, v35 dst_sel:DWORD dst_unused:UNUSED_PAD src0_sel:DWORD src1_sel:WORD_1
	v_fma_f16 v42, v11, v35, v15
	v_add_f16_e32 v11, v36, v20
	v_add_f16_e32 v21, v11, v23
	;; [unrolled: 1-line block ×3, first 2 shown]
	v_fma_f16 v11, v11, -0.5, v36
	v_sub_f16_e32 v15, v22, v24
	v_fma_f16 v34, v15, s2, v11
	v_fma_f16 v35, v15, s3, v11
	v_add_f16_e32 v11, v19, v25
	v_add_f16_e32 v36, v11, v27
	v_add_f16_e32 v11, v25, v27
	v_fma_f16 v11, v11, -0.5, v19
	v_sub_f16_e32 v15, v26, v28
	v_fma_f16 v38, v15, s2, v11
	v_fma_f16 v49, v15, s3, v11
	v_add_f16_e32 v15, v30, v32
	v_add_f16_e32 v11, v18, v30
	v_fma_f16 v15, v15, -0.5, v18
	v_sub_f16_e32 v18, v31, v33
	v_add_f16_e32 v19, v39, v41
	ds_write_b16 v44, v21
	ds_write_b16 v44, v34 offset:60
	ds_write_b16 v44, v35 offset:120
	v_mul_u32_u24_e32 v21, 0xb4, v45
	v_fma_f16 v16, v18, s2, v15
	v_fma_f16 v15, v18, s3, v15
	v_add_f16_e32 v18, v10, v39
	v_fma_f16 v19, v19, -0.5, v10
	v_sub_f16_e32 v50, v40, v42
	v_add3_u32 v45, 0, v21, v46
	v_mul_u32_u24_e32 v21, 0xb4, v47
	v_add_f16_e32 v11, v11, v32
	v_add_f16_e32 v18, v18, v41
	v_fma_f16 v10, v50, s2, v19
	v_fma_f16 v19, v50, s3, v19
	v_add3_u32 v46, 0, v21, v48
	ds_write_b16 v45, v36
	ds_write_b16 v45, v38 offset:60
	ds_write_b16 v45, v49 offset:120
	ds_write_b16 v46, v11
	ds_write_b16 v46, v16 offset:60
	ds_write_b16 v46, v15 offset:120
	s_and_saveexec_b64 s[2:3], s[0:1]
	s_cbranch_execz .LBB0_27
; %bb.26:
	v_mul_lo_u16_e32 v21, 0x5a, v29
	v_lshlrev_b32_e32 v21, 1, v21
	v_add3_u32 v21, 0, v43, v21
	ds_write_b16 v21, v18
	ds_write_b16 v21, v10 offset:60
	ds_write_b16 v21, v19 offset:120
.LBB0_27:
	s_or_b64 exec, exec, s[2:3]
	s_waitcnt lgkmcnt(0)
	s_barrier
	ds_read_u16 v21, v2
	ds_read_u16 v38, v2 offset:540
	ds_read_u16 v37, v2 offset:1080
	;; [unrolled: 1-line block ×5, first 2 shown]
	s_movk_i32 s2, 0x6c
	v_cmp_gt_u32_e64 s[2:3], s2, v4
	s_and_saveexec_b64 s[4:5], s[2:3]
	s_cbranch_execz .LBB0_29
; %bb.28:
	ds_read_u16 v16, v2 offset:864
	ds_read_u16 v15, v2 offset:1404
	;; [unrolled: 1-line block ×4, first 2 shown]
	ds_read_u16 v11, v7
	ds_read_u16 v19, v2 offset:3024
.LBB0_29:
	s_or_b64 exec, exec, s[4:5]
	v_add_f16_e32 v47, v17, v22
	v_add_f16_e32 v22, v22, v24
	v_fma_f16 v17, v22, -0.5, v17
	v_sub_f16_e32 v20, v20, v23
	s_mov_b32 s4, 0xbaee
	s_movk_i32 s5, 0x3aee
	v_fma_f16 v48, v20, s4, v17
	v_fma_f16 v20, v20, s5, v17
	v_add_f16_e32 v17, v13, v26
	v_add_f16_e32 v49, v17, v28
	;; [unrolled: 1-line block ×3, first 2 shown]
	v_fma_f16 v13, v17, -0.5, v13
	v_sub_f16_e32 v17, v25, v27
	v_fma_f16 v25, v17, s4, v13
	v_fma_f16 v26, v17, s5, v13
	v_add_f16_e32 v17, v31, v33
	v_add_f16_e32 v13, v14, v31
	v_fma_f16 v14, v17, -0.5, v14
	v_sub_f16_e32 v17, v30, v32
	v_fma_f16 v22, v17, s4, v14
	v_fma_f16 v17, v17, s5, v14
	v_add_f16_e32 v14, v12, v40
	v_add_f16_e32 v23, v14, v42
	;; [unrolled: 1-line block ×4, first 2 shown]
	v_fma_f16 v14, v14, -0.5, v12
	v_sub_f16_e32 v24, v39, v41
	v_add_f16_e32 v13, v13, v33
	v_fma_f16 v12, v24, s4, v14
	v_fma_f16 v24, v24, s5, v14
	s_waitcnt lgkmcnt(0)
	s_barrier
	ds_write_b16 v44, v47
	ds_write_b16 v44, v48 offset:60
	ds_write_b16 v44, v20 offset:120
	ds_write_b16 v45, v49
	ds_write_b16 v45, v25 offset:60
	ds_write_b16 v45, v26 offset:120
	;; [unrolled: 3-line block ×3, first 2 shown]
	s_and_saveexec_b64 s[4:5], s[0:1]
	s_cbranch_execz .LBB0_31
; %bb.30:
	v_mul_lo_u16_e32 v14, 0x5a, v29
	v_lshlrev_b32_e32 v14, 1, v14
	v_add3_u32 v14, 0, v43, v14
	ds_write_b16 v14, v23
	ds_write_b16 v14, v12 offset:60
	ds_write_b16 v14, v24 offset:120
.LBB0_31:
	s_or_b64 exec, exec, s[4:5]
	s_waitcnt lgkmcnt(0)
	s_barrier
	ds_read_u16 v14, v2
	ds_read_u16 v26, v2 offset:540
	ds_read_u16 v29, v2 offset:1080
	;; [unrolled: 1-line block ×5, first 2 shown]
	s_and_saveexec_b64 s[4:5], s[2:3]
	s_cbranch_execz .LBB0_33
; %bb.32:
	ds_read_u16 v22, v2 offset:864
	ds_read_u16 v17, v2 offset:1404
	;; [unrolled: 1-line block ×4, first 2 shown]
	ds_read_u16 v13, v7
	ds_read_u16 v24, v2 offset:3024
.LBB0_33:
	s_or_b64 exec, exec, s[4:5]
	s_movk_i32 s4, 0x5a
	v_add_u32_e32 v20, 0xffffffa6, v4
	v_cmp_gt_u32_e64 s[4:5], s4, v4
	v_cndmask_b32_e64 v45, v20, v4, s[4:5]
	v_mul_i32_i24_e32 v30, 5, v45
	v_mov_b32_e32 v31, 0
	v_lshlrev_b64 v[30:31], 2, v[30:31]
	v_mov_b32_e32 v20, s9
	v_add_co_u32_e64 v39, s[4:5], s8, v30
	v_addc_co_u32_e64 v40, s[4:5], v20, v31, s[4:5]
	s_movk_i32 s4, 0x2d83
	v_mul_u32_u24_sdwa v20, v6, s4 dst_sel:DWORD dst_unused:UNUSED_PAD src0_sel:WORD_0 src1_sel:DWORD
	v_lshrrev_b32_e32 v20, 20, v20
	global_load_dwordx4 v[30:33], v[39:40], off offset:320
	global_load_dword v43, v[39:40], off offset:336
	v_mul_lo_u16_e32 v39, 0x5a, v20
	v_sub_u16_e32 v49, v6, v39
	v_mul_u32_u24_e32 v39, 5, v49
	v_lshlrev_b32_e32 v44, 2, v39
	global_load_dwordx4 v[39:42], v44, s[8:9] offset:320
	global_load_dword v46, v44, s[8:9] offset:336
	s_mov_b32 s5, 0xbaee
	s_movk_i32 s4, 0x3aee
	v_lshlrev_b32_e32 v45, 1, v45
	s_waitcnt vmcnt(0) lgkmcnt(0)
	s_barrier
	v_mul_f16_sdwa v44, v26, v30 dst_sel:DWORD dst_unused:UNUSED_PAD src0_sel:DWORD src1_sel:WORD_1
	v_mul_f16_sdwa v47, v38, v30 dst_sel:DWORD dst_unused:UNUSED_PAD src0_sel:DWORD src1_sel:WORD_1
	;; [unrolled: 1-line block ×10, first 2 shown]
	v_fma_f16 v44, v38, v30, -v44
	v_fma_f16 v26, v26, v30, v47
	v_fma_f16 v30, v37, v31, -v48
	v_fma_f16 v37, v29, v31, v50
	;; [unrolled: 2-line block ×4, first 2 shown]
	v_fma_f16 v31, v25, v43, v56
	v_mul_f16_sdwa v25, v22, v39 dst_sel:DWORD dst_unused:UNUSED_PAD src0_sel:DWORD src1_sel:WORD_1
	v_mul_f16_sdwa v27, v16, v39 dst_sel:DWORD dst_unused:UNUSED_PAD src0_sel:DWORD src1_sel:WORD_1
	;; [unrolled: 1-line block ×4, first 2 shown]
	v_fma_f16 v48, v34, v43, -v55
	v_mul_f16_sdwa v29, v17, v40 dst_sel:DWORD dst_unused:UNUSED_PAD src0_sel:DWORD src1_sel:WORD_1
	v_mul_f16_sdwa v34, v18, v41 dst_sel:DWORD dst_unused:UNUSED_PAD src0_sel:DWORD src1_sel:WORD_1
	;; [unrolled: 1-line block ×5, first 2 shown]
	v_fma_f16 v25, v16, v39, -v25
	v_fma_f16 v27, v22, v39, v27
	v_fma_f16 v22, v18, v41, -v33
	v_fma_f16 v33, v24, v46, v51
	v_add_f16_e32 v16, v30, v35
	v_add_f16_e32 v24, v28, v31
	v_mul_f16_sdwa v32, v15, v40 dst_sel:DWORD dst_unused:UNUSED_PAD src0_sel:DWORD src1_sel:WORD_1
	v_fma_f16 v15, v15, v40, -v29
	v_fma_f16 v29, v23, v41, v34
	v_fma_f16 v34, v10, v42, -v36
	v_fma_f16 v36, v12, v42, v43
	v_fma_f16 v10, v19, v46, -v50
	v_add_f16_e32 v12, v21, v30
	v_add_f16_e32 v18, v44, v47
	;; [unrolled: 1-line block ×3, first 2 shown]
	v_sub_f16_e32 v41, v47, v48
	v_fma_f16 v16, v16, -0.5, v21
	v_fma_f16 v21, v24, -0.5, v26
	v_sub_f16_e32 v23, v28, v31
	v_add_f16_e32 v12, v12, v35
	v_add_f16_e32 v18, v18, v48
	v_fma_f16 v19, v19, -0.5, v44
	v_fma_f16 v42, v41, s5, v21
	v_fma_f16 v32, v17, v40, v32
	v_sub_f16_e32 v17, v37, v38
	v_fma_f16 v40, v23, s4, v19
	v_fma_f16 v39, v23, s5, v19
	v_add_f16_e32 v23, v12, v18
	v_sub_f16_e32 v50, v12, v18
	v_mul_f16_e32 v12, 0x3aee, v42
	v_fma_f16 v24, v17, s4, v16
	v_fma_f16 v16, v17, s5, v16
	;; [unrolled: 1-line block ×3, first 2 shown]
	v_mul_f16_e32 v17, -0.5, v39
	v_fma_f16 v12, v40, 0.5, v12
	v_fma_f16 v17, v41, s4, v17
	v_add_f16_e32 v51, v24, v12
	v_sub_f16_e32 v24, v24, v12
	v_add_f16_e32 v12, v11, v15
	v_add_f16_e32 v52, v16, v17
	v_sub_f16_e32 v53, v16, v17
	v_add_f16_e32 v16, v12, v34
	v_add_f16_e32 v12, v15, v34
	v_fma_f16 v11, v12, -0.5, v11
	v_sub_f16_e32 v12, v32, v36
	v_fma_f16 v17, v12, s4, v11
	v_fma_f16 v18, v12, s5, v11
	v_add_f16_e32 v11, v25, v22
	v_add_f16_e32 v19, v11, v10
	;; [unrolled: 1-line block ×3, first 2 shown]
	v_fma_f16 v11, v11, -0.5, v25
	v_sub_f16_e32 v12, v29, v33
	v_fma_f16 v44, v12, s4, v11
	v_fma_f16 v43, v12, s5, v11
	v_add_f16_e32 v11, v29, v33
	v_fma_f16 v11, v11, -0.5, v27
	v_sub_f16_e32 v10, v22, v10
	v_fma_f16 v46, v10, s5, v11
	v_fma_f16 v47, v10, s4, v11
	v_mul_f16_e32 v10, 0x3aee, v46
	v_fma_f16 v21, v44, 0.5, v10
	v_mul_f16_e32 v10, -0.5, v43
	v_fma_f16 v22, v47, s4, v10
	s_movk_i32 s4, 0x59
	v_mov_b32_e32 v25, 0x438
	v_cmp_lt_u32_e64 s[4:5], s4, v4
	v_cndmask_b32_e64 v25, 0, v25, s[4:5]
	v_sub_f16_e32 v10, v16, v19
	v_sub_f16_e32 v11, v17, v21
	;; [unrolled: 1-line block ×3, first 2 shown]
	v_add3_u32 v48, 0, v25, v45
	v_lshlrev_b32_e32 v45, 1, v49
	ds_write_b16 v48, v23
	ds_write_b16 v48, v51 offset:180
	ds_write_b16 v48, v52 offset:360
	;; [unrolled: 1-line block ×5, first 2 shown]
	s_and_saveexec_b64 s[4:5], s[2:3]
	s_cbranch_execz .LBB0_35
; %bb.34:
	v_add_f16_e32 v16, v16, v19
	v_mul_lo_u16_e32 v19, 0x21c, v20
	v_lshlrev_b32_e32 v19, 1, v19
	v_add3_u32 v19, 0, v45, v19
	v_add_f16_e32 v18, v18, v22
	v_add_f16_e32 v17, v17, v21
	ds_write_b16 v19, v16
	ds_write_b16 v19, v17 offset:180
	ds_write_b16 v19, v18 offset:360
	;; [unrolled: 1-line block ×5, first 2 shown]
.LBB0_35:
	s_or_b64 exec, exec, s[4:5]
	s_waitcnt lgkmcnt(0)
	s_barrier
	ds_read_u16 v16, v2
	ds_read_u16 v18, v2 offset:1080
	ds_read_u16 v22, v2 offset:1404
	;; [unrolled: 1-line block ×3, first 2 shown]
	ds_read_u16 v21, v9
	ds_read_u16 v17, v7
	ds_read_u16 v24, v2 offset:2808
	ds_read_u16 v19, v2 offset:2160
	;; [unrolled: 1-line block ×3, first 2 shown]
	s_and_saveexec_b64 s[4:5], s[0:1]
	s_cbranch_execz .LBB0_37
; %bb.36:
	ds_read_u16 v11, v2 offset:2052
	ds_read_u16 v10, v8
	ds_read_u16 v12, v2 offset:3132
.LBB0_37:
	s_or_b64 exec, exec, s[4:5]
	v_add_f16_e32 v49, v14, v37
	v_add_f16_e32 v37, v37, v38
	v_fma_f16 v14, v37, -0.5, v14
	v_sub_f16_e32 v30, v30, v35
	s_mov_b32 s4, 0xbaee
	s_movk_i32 s5, 0x3aee
	v_fma_f16 v35, v30, s4, v14
	v_fma_f16 v14, v30, s5, v14
	v_mul_f16_e32 v30, -0.5, v41
	v_add_f16_e32 v26, v26, v28
	v_fma_f16 v30, v39, s4, v30
	v_add_f16_e32 v49, v49, v38
	v_add_f16_e32 v26, v26, v31
	v_add_f16_e32 v39, v14, v30
	v_sub_f16_e32 v41, v14, v30
	v_add_f16_e32 v14, v13, v32
	v_add_f16_e32 v37, v49, v26
	v_mul_f16_e32 v28, 0xbaee, v40
	v_sub_f16_e32 v40, v49, v26
	v_add_f16_e32 v26, v14, v36
	v_add_f16_e32 v14, v32, v36
	v_fma_f16 v28, v42, 0.5, v28
	v_fma_f16 v13, v14, -0.5, v13
	v_sub_f16_e32 v14, v15, v34
	v_add_f16_e32 v38, v35, v28
	v_sub_f16_e32 v35, v35, v28
	v_fma_f16 v28, v14, s4, v13
	v_fma_f16 v30, v14, s5, v13
	v_add_f16_e32 v13, v27, v29
	v_add_f16_e32 v27, v13, v33
	v_mul_f16_e32 v13, 0xbaee, v44
	v_fma_f16 v29, v46, 0.5, v13
	v_mul_f16_e32 v13, -0.5, v47
	v_fma_f16 v31, v43, s4, v13
	v_sub_f16_e32 v13, v26, v27
	v_sub_f16_e32 v14, v28, v29
	;; [unrolled: 1-line block ×3, first 2 shown]
	s_waitcnt lgkmcnt(0)
	s_barrier
	ds_write_b16 v48, v37
	ds_write_b16 v48, v38 offset:180
	ds_write_b16 v48, v39 offset:360
	;; [unrolled: 1-line block ×5, first 2 shown]
	s_and_saveexec_b64 s[4:5], s[2:3]
	s_cbranch_execz .LBB0_39
; %bb.38:
	v_mul_lo_u16_e32 v20, 0x21c, v20
	v_lshlrev_b32_e32 v20, 1, v20
	v_add_f16_e32 v26, v26, v27
	v_add3_u32 v20, 0, v45, v20
	v_add_f16_e32 v27, v28, v29
	v_add_f16_e32 v28, v30, v31
	ds_write_b16 v20, v26
	ds_write_b16 v20, v27 offset:180
	ds_write_b16 v20, v28 offset:360
	;; [unrolled: 1-line block ×5, first 2 shown]
.LBB0_39:
	s_or_b64 exec, exec, s[4:5]
	s_waitcnt lgkmcnt(0)
	s_barrier
	ds_read_u16 v20, v2
	ds_read_u16 v26, v2 offset:1080
	ds_read_u16 v28, v2 offset:1404
	;; [unrolled: 1-line block ×3, first 2 shown]
	ds_read_u16 v27, v9
	ds_read_u16 v7, v7
	ds_read_u16 v30, v2 offset:2808
	ds_read_u16 v9, v2 offset:2160
	;; [unrolled: 1-line block ×3, first 2 shown]
	s_and_saveexec_b64 s[2:3], s[0:1]
	s_cbranch_execz .LBB0_41
; %bb.40:
	ds_read_u16 v14, v2 offset:2052
	ds_read_u16 v13, v8
	ds_read_u16 v15, v2 offset:3132
.LBB0_41:
	s_or_b64 exec, exec, s[2:3]
	s_and_saveexec_b64 s[2:3], vcc
	s_cbranch_execz .LBB0_44
; %bb.42:
	v_lshlrev_b32_e32 v2, 1, v3
	v_mov_b32_e32 v3, 0
	v_lshlrev_b64 v[32:33], 2, v[2:3]
	v_lshlrev_b32_e32 v2, 1, v6
	v_mov_b32_e32 v8, s9
	v_add_co_u32_e32 v32, vcc, s8, v32
	v_lshlrev_b64 v[34:35], 2, v[2:3]
	v_addc_co_u32_e32 v33, vcc, v8, v33, vcc
	v_lshlrev_b32_e32 v2, 1, v4
	v_add_co_u32_e32 v34, vcc, s8, v34
	v_lshlrev_b64 v[36:37], 2, v[2:3]
	v_addc_co_u32_e32 v35, vcc, v8, v35, vcc
	global_load_dwordx2 v[32:33], v[32:33], off offset:2120
	v_add_co_u32_e32 v36, vcc, s8, v36
	global_load_dwordx2 v[34:35], v[34:35], off offset:2120
	v_addc_co_u32_e32 v37, vcc, v8, v37, vcc
	global_load_dwordx2 v[36:37], v[36:37], off offset:2120
	v_mad_u64_u32 v[38:39], s[2:3], s12, v4, 0
	s_movk_i32 s2, 0x3aee
	s_mov_b32 s3, 0xbaee
	v_mov_b32_e32 v2, v39
	v_add_co_u32_e32 v0, vcc, s14, v0
	s_movk_i32 s6, 0x438
	s_waitcnt vmcnt(2) lgkmcnt(0)
	v_mul_f16_sdwa v6, v31, v32 dst_sel:DWORD dst_unused:UNUSED_PAD src0_sel:DWORD src1_sel:WORD_1
	v_mul_f16_sdwa v8, v30, v33 dst_sel:DWORD dst_unused:UNUSED_PAD src0_sel:DWORD src1_sel:WORD_1
	;; [unrolled: 1-line block ×4, first 2 shown]
	v_fma_f16 v6, v25, v32, -v6
	v_fma_f16 v8, v24, v33, -v8
	v_fma_f16 v24, v31, v32, v39
	v_fma_f16 v25, v30, v33, v40
	s_waitcnt vmcnt(1)
	v_mul_f16_sdwa v30, v28, v34 dst_sel:DWORD dst_unused:UNUSED_PAD src0_sel:DWORD src1_sel:WORD_1
	v_mul_f16_sdwa v31, v29, v35 dst_sel:DWORD dst_unused:UNUSED_PAD src0_sel:DWORD src1_sel:WORD_1
	;; [unrolled: 1-line block ×4, first 2 shown]
	v_sub_f16_e32 v39, v6, v8
	v_add_f16_e32 v40, v24, v25
	v_add_f16_e32 v42, v6, v8
	;; [unrolled: 1-line block ×3, first 2 shown]
	v_fma_f16 v22, v22, v34, -v30
	v_fma_f16 v23, v23, v35, -v31
	v_fma_f16 v28, v28, v34, v32
	v_fma_f16 v29, v29, v35, v33
	s_waitcnt vmcnt(0)
	v_mul_f16_sdwa v32, v18, v36 dst_sel:DWORD dst_unused:UNUSED_PAD src0_sel:DWORD src1_sel:WORD_1
	v_mul_f16_sdwa v33, v19, v37 dst_sel:DWORD dst_unused:UNUSED_PAD src0_sel:DWORD src1_sel:WORD_1
	v_add_f16_e32 v41, v27, v24
	v_mul_f16_sdwa v30, v26, v36 dst_sel:DWORD dst_unused:UNUSED_PAD src0_sel:DWORD src1_sel:WORD_1
	v_mul_f16_sdwa v31, v9, v37 dst_sel:DWORD dst_unused:UNUSED_PAD src0_sel:DWORD src1_sel:WORD_1
	v_fma_f16 v27, v40, -0.5, v27
	v_add_f16_e32 v34, v6, v8
	v_sub_f16_e32 v6, v22, v23
	v_add_f16_e32 v8, v28, v29
	v_add_f16_e32 v40, v22, v23
	;; [unrolled: 1-line block ×3, first 2 shown]
	v_fma_f16 v26, v26, v36, v32
	v_fma_f16 v9, v9, v37, v33
	v_sub_f16_e32 v24, v24, v25
	v_fma_f16 v21, v42, -0.5, v21
	v_add_f16_e32 v35, v7, v28
	v_fma_f16 v18, v18, v36, -v30
	v_fma_f16 v19, v19, v37, -v31
	v_fma_f16 v7, v8, -0.5, v7
	v_add_f16_e32 v22, v22, v23
	v_add_f16_e32 v23, v26, v9
	v_sub_f16_e32 v28, v28, v29
	v_fma_f16 v31, v24, s3, v21
	v_fma_f16 v21, v24, s2, v21
	v_add_f16_e32 v24, v35, v29
	v_fma_f16 v8, v40, -0.5, v17
	v_sub_f16_e32 v17, v18, v19
	v_add_f16_e32 v29, v20, v26
	v_fma_f16 v33, v6, s2, v7
	v_fma_f16 v35, v6, s3, v7
	v_fma_f16 v6, v23, -0.5, v20
	v_add_f16_e32 v20, v29, v9
	v_fma_f16 v23, v17, s2, v6
	v_fma_f16 v29, v17, s3, v6
	v_mad_u64_u32 v[6:7], s[4:5], s13, v4, v[2:3]
	v_add_f16_e32 v32, v18, v19
	v_fma_f16 v36, v28, s3, v8
	v_fma_f16 v28, v28, s2, v8
	v_fma_f16 v8, v32, -0.5, v16
	v_add_f16_e32 v2, v16, v18
	v_add_u32_e32 v16, 0x21c, v4
	v_fma_f16 v30, v39, s2, v27
	v_fma_f16 v27, v39, s3, v27
	v_mov_b32_e32 v39, v6
	v_mad_u64_u32 v[6:7], s[4:5], s12, v16, 0
	v_add_f16_e32 v18, v2, v19
	v_mov_b32_e32 v2, s15
	v_sub_f16_e32 v26, v26, v9
	v_addc_co_u32_e32 v1, vcc, v2, v1, vcc
	v_mov_b32_e32 v2, v7
	v_fma_f16 v32, v26, s3, v8
	v_fma_f16 v26, v26, s2, v8
	v_lshlrev_b64 v[8:9], 2, v[38:39]
	v_mad_u64_u32 v[16:17], s[4:5], s13, v16, v[2:3]
	v_add_co_u32_e32 v7, vcc, v0, v8
	v_addc_co_u32_e32 v8, vcc, v1, v9, vcc
	v_pack_b32_f16 v2, v18, v20
	global_store_dword v[7:8], v2, off
	v_mov_b32_e32 v7, v16
	v_add_u32_e32 v16, 0x438, v4
	v_mad_u64_u32 v[8:9], s[4:5], s12, v16, 0
	v_lshlrev_b64 v[6:7], 2, v[6:7]
	v_add_u32_e32 v20, 0x2be, v4
	v_mov_b32_e32 v2, v9
	v_mad_u64_u32 v[16:17], s[4:5], s13, v16, v[2:3]
	v_add_co_u32_e32 v6, vcc, v0, v6
	v_addc_co_u32_e32 v7, vcc, v1, v7, vcc
	v_pack_b32_f16 v2, v26, v29
	v_mov_b32_e32 v9, v16
	v_add_u32_e32 v16, 0xa2, v4
	global_store_dword v[6:7], v2, off
	v_lshlrev_b64 v[6:7], 2, v[8:9]
	v_mad_u64_u32 v[8:9], s[4:5], s12, v16, 0
	v_add_co_u32_e32 v6, vcc, v0, v6
	v_mov_b32_e32 v2, v9
	v_mad_u64_u32 v[16:17], s[4:5], s13, v16, v[2:3]
	v_mad_u64_u32 v[17:18], s[4:5], s12, v20, 0
	v_addc_co_u32_e32 v7, vcc, v1, v7, vcc
	v_pack_b32_f16 v19, v32, v23
	v_mov_b32_e32 v9, v16
	v_mov_b32_e32 v2, v18
	global_store_dword v[6:7], v19, off
	v_lshlrev_b64 v[6:7], 2, v[8:9]
	v_mad_u64_u32 v[8:9], s[4:5], s13, v20, v[2:3]
	v_add_co_u32_e32 v6, vcc, v0, v6
	v_add_u32_e32 v16, 0x4da, v4
	v_addc_co_u32_e32 v7, vcc, v1, v7, vcc
	v_pack_b32_f16 v2, v22, v24
	v_mov_b32_e32 v18, v8
	v_mad_u64_u32 v[8:9], s[4:5], s12, v16, 0
	global_store_dword v[6:7], v2, off
	v_lshlrev_b64 v[6:7], 2, v[17:18]
	v_add_u32_e32 v18, 0x144, v4
	s_mov_b32 s4, 0xf2b9d649
	v_mul_hi_u32 v20, v18, s4
	v_mov_b32_e32 v2, v9
	v_mad_u64_u32 v[16:17], s[4:5], s13, v16, v[2:3]
	v_lshrrev_b32_e32 v2, 9, v20
	v_mad_u32_u24 v20, v2, s6, v18
	v_mad_u64_u32 v[17:18], s[4:5], s12, v20, 0
	v_add_co_u32_e32 v6, vcc, v0, v6
	v_addc_co_u32_e32 v7, vcc, v1, v7, vcc
	v_pack_b32_f16 v19, v28, v35
	v_mov_b32_e32 v9, v16
	v_mov_b32_e32 v2, v18
	global_store_dword v[6:7], v19, off
	v_lshlrev_b64 v[6:7], 2, v[8:9]
	v_mad_u64_u32 v[8:9], s[4:5], s13, v20, v[2:3]
	v_add_u32_e32 v16, 0x21c, v20
	v_add_co_u32_e32 v6, vcc, v0, v6
	v_mov_b32_e32 v18, v8
	v_mad_u64_u32 v[8:9], s[4:5], s12, v16, 0
	v_addc_co_u32_e32 v7, vcc, v1, v7, vcc
	v_pack_b32_f16 v2, v36, v33
	global_store_dword v[6:7], v2, off
	v_mov_b32_e32 v2, v9
	v_lshlrev_b64 v[6:7], 2, v[17:18]
	v_mad_u64_u32 v[16:17], s[4:5], s13, v16, v[2:3]
	v_add_u32_e32 v20, 0x438, v20
	v_mad_u64_u32 v[17:18], s[4:5], s12, v20, 0
	v_add_f16_e32 v25, v41, v25
	v_add_co_u32_e32 v6, vcc, v0, v6
	v_addc_co_u32_e32 v7, vcc, v1, v7, vcc
	v_pack_b32_f16 v19, v34, v25
	v_mov_b32_e32 v9, v16
	v_mov_b32_e32 v2, v18
	global_store_dword v[6:7], v19, off
	v_lshlrev_b64 v[6:7], 2, v[8:9]
	v_mad_u64_u32 v[8:9], s[4:5], s13, v20, v[2:3]
	v_add_co_u32_e32 v6, vcc, v0, v6
	v_addc_co_u32_e32 v7, vcc, v1, v7, vcc
	v_pack_b32_f16 v2, v21, v27
	v_mov_b32_e32 v18, v8
	global_store_dword v[6:7], v2, off
	v_lshlrev_b64 v[6:7], 2, v[17:18]
	v_pack_b32_f16 v2, v31, v30
	v_add_co_u32_e32 v6, vcc, v0, v6
	v_addc_co_u32_e32 v7, vcc, v1, v7, vcc
	global_store_dword v[6:7], v2, off
	s_and_b64 exec, exec, s[0:1]
	s_cbranch_execz .LBB0_44
; %bb.43:
	v_subrev_u32_e32 v2, 54, v4
	v_cndmask_b32_e64 v2, v2, v5, s[0:1]
	v_lshlrev_b32_e32 v2, 1, v2
	v_lshlrev_b64 v[2:3], 2, v[2:3]
	v_mov_b32_e32 v5, s9
	v_add_co_u32_e32 v2, vcc, s8, v2
	v_addc_co_u32_e32 v3, vcc, v5, v3, vcc
	global_load_dwordx2 v[2:3], v[2:3], off offset:2120
	v_add_u32_e32 v16, 0x1e6, v4
	v_add_u32_e32 v18, 0x402, v4
	;; [unrolled: 1-line block ×3, first 2 shown]
	v_mad_u64_u32 v[4:5], s[0:1], s12, v16, 0
	v_mad_u64_u32 v[6:7], s[0:1], s12, v18, 0
	;; [unrolled: 1-line block ×6, first 2 shown]
	v_mov_b32_e32 v5, v16
	v_lshlrev_b64 v[4:5], 2, v[4:5]
	v_mov_b32_e32 v7, v17
	v_lshlrev_b64 v[6:7], 2, v[6:7]
	v_add_co_u32_e32 v4, vcc, v0, v4
	v_mov_b32_e32 v9, v18
	v_addc_co_u32_e32 v5, vcc, v1, v5, vcc
	v_lshlrev_b64 v[8:9], 2, v[8:9]
	v_add_co_u32_e32 v6, vcc, v0, v6
	v_addc_co_u32_e32 v7, vcc, v1, v7, vcc
	v_add_co_u32_e32 v0, vcc, v0, v8
	v_addc_co_u32_e32 v1, vcc, v1, v9, vcc
	s_waitcnt vmcnt(0)
	v_mul_f16_sdwa v8, v14, v2 dst_sel:DWORD dst_unused:UNUSED_PAD src0_sel:DWORD src1_sel:WORD_1
	v_mul_f16_sdwa v9, v11, v2 dst_sel:DWORD dst_unused:UNUSED_PAD src0_sel:DWORD src1_sel:WORD_1
	;; [unrolled: 1-line block ×4, first 2 shown]
	v_fma_f16 v8, v11, v2, -v8
	v_fma_f16 v2, v14, v2, v9
	v_fma_f16 v9, v12, v3, -v16
	v_fma_f16 v3, v15, v3, v17
	v_add_f16_e32 v11, v10, v8
	v_add_f16_e32 v12, v8, v9
	v_sub_f16_e32 v14, v2, v3
	v_add_f16_e32 v15, v13, v2
	v_add_f16_e32 v2, v2, v3
	v_sub_f16_e32 v8, v8, v9
	v_add_f16_e32 v9, v11, v9
	v_fma_f16 v10, v12, -0.5, v10
	v_add_f16_e32 v3, v15, v3
	v_fma_f16 v2, v2, -0.5, v13
	v_fma_f16 v11, v14, s2, v10
	v_fma_f16 v12, v8, s3, v2
	v_pack_b32_f16 v3, v9, v3
	v_fma_f16 v10, v14, s3, v10
	v_fma_f16 v2, v8, s2, v2
	global_store_dword v[4:5], v3, off
	v_pack_b32_f16 v3, v11, v12
	v_pack_b32_f16 v2, v10, v2
	global_store_dword v[6:7], v3, off
	global_store_dword v[0:1], v2, off
.LBB0_44:
	s_endpgm
	.section	.rodata,"a",@progbits
	.p2align	6, 0x0
	.amdhsa_kernel fft_rtc_fwd_len1620_factors_10_3_3_6_3_wgs_162_tpt_162_halfLds_half_ip_CI_sbrr_dirReg
		.amdhsa_group_segment_fixed_size 0
		.amdhsa_private_segment_fixed_size 0
		.amdhsa_kernarg_size 88
		.amdhsa_user_sgpr_count 6
		.amdhsa_user_sgpr_private_segment_buffer 1
		.amdhsa_user_sgpr_dispatch_ptr 0
		.amdhsa_user_sgpr_queue_ptr 0
		.amdhsa_user_sgpr_kernarg_segment_ptr 1
		.amdhsa_user_sgpr_dispatch_id 0
		.amdhsa_user_sgpr_flat_scratch_init 0
		.amdhsa_user_sgpr_private_segment_size 0
		.amdhsa_uses_dynamic_stack 0
		.amdhsa_system_sgpr_private_segment_wavefront_offset 0
		.amdhsa_system_sgpr_workgroup_id_x 1
		.amdhsa_system_sgpr_workgroup_id_y 0
		.amdhsa_system_sgpr_workgroup_id_z 0
		.amdhsa_system_sgpr_workgroup_info 0
		.amdhsa_system_vgpr_workitem_id 0
		.amdhsa_next_free_vgpr 57
		.amdhsa_next_free_sgpr 24
		.amdhsa_reserve_vcc 1
		.amdhsa_reserve_flat_scratch 0
		.amdhsa_float_round_mode_32 0
		.amdhsa_float_round_mode_16_64 0
		.amdhsa_float_denorm_mode_32 3
		.amdhsa_float_denorm_mode_16_64 3
		.amdhsa_dx10_clamp 1
		.amdhsa_ieee_mode 1
		.amdhsa_fp16_overflow 0
		.amdhsa_exception_fp_ieee_invalid_op 0
		.amdhsa_exception_fp_denorm_src 0
		.amdhsa_exception_fp_ieee_div_zero 0
		.amdhsa_exception_fp_ieee_overflow 0
		.amdhsa_exception_fp_ieee_underflow 0
		.amdhsa_exception_fp_ieee_inexact 0
		.amdhsa_exception_int_div_zero 0
	.end_amdhsa_kernel
	.text
.Lfunc_end0:
	.size	fft_rtc_fwd_len1620_factors_10_3_3_6_3_wgs_162_tpt_162_halfLds_half_ip_CI_sbrr_dirReg, .Lfunc_end0-fft_rtc_fwd_len1620_factors_10_3_3_6_3_wgs_162_tpt_162_halfLds_half_ip_CI_sbrr_dirReg
                                        ; -- End function
	.section	.AMDGPU.csdata,"",@progbits
; Kernel info:
; codeLenInByte = 9012
; NumSgprs: 28
; NumVgprs: 57
; ScratchSize: 0
; MemoryBound: 0
; FloatMode: 240
; IeeeMode: 1
; LDSByteSize: 0 bytes/workgroup (compile time only)
; SGPRBlocks: 3
; VGPRBlocks: 14
; NumSGPRsForWavesPerEU: 28
; NumVGPRsForWavesPerEU: 57
; Occupancy: 4
; WaveLimiterHint : 1
; COMPUTE_PGM_RSRC2:SCRATCH_EN: 0
; COMPUTE_PGM_RSRC2:USER_SGPR: 6
; COMPUTE_PGM_RSRC2:TRAP_HANDLER: 0
; COMPUTE_PGM_RSRC2:TGID_X_EN: 1
; COMPUTE_PGM_RSRC2:TGID_Y_EN: 0
; COMPUTE_PGM_RSRC2:TGID_Z_EN: 0
; COMPUTE_PGM_RSRC2:TIDIG_COMP_CNT: 0
	.type	__hip_cuid_36f1eb24dc4b3d77,@object ; @__hip_cuid_36f1eb24dc4b3d77
	.section	.bss,"aw",@nobits
	.globl	__hip_cuid_36f1eb24dc4b3d77
__hip_cuid_36f1eb24dc4b3d77:
	.byte	0                               ; 0x0
	.size	__hip_cuid_36f1eb24dc4b3d77, 1

	.ident	"AMD clang version 19.0.0git (https://github.com/RadeonOpenCompute/llvm-project roc-6.4.0 25133 c7fe45cf4b819c5991fe208aaa96edf142730f1d)"
	.section	".note.GNU-stack","",@progbits
	.addrsig
	.addrsig_sym __hip_cuid_36f1eb24dc4b3d77
	.amdgpu_metadata
---
amdhsa.kernels:
  - .args:
      - .actual_access:  read_only
        .address_space:  global
        .offset:         0
        .size:           8
        .value_kind:     global_buffer
      - .offset:         8
        .size:           8
        .value_kind:     by_value
      - .actual_access:  read_only
        .address_space:  global
        .offset:         16
        .size:           8
        .value_kind:     global_buffer
      - .actual_access:  read_only
        .address_space:  global
        .offset:         24
        .size:           8
        .value_kind:     global_buffer
      - .offset:         32
        .size:           8
        .value_kind:     by_value
      - .actual_access:  read_only
        .address_space:  global
        .offset:         40
        .size:           8
        .value_kind:     global_buffer
      - .actual_access:  read_only
        .address_space:  global
        .offset:         48
        .size:           8
        .value_kind:     global_buffer
      - .offset:         56
        .size:           4
        .value_kind:     by_value
      - .actual_access:  read_only
        .address_space:  global
        .offset:         64
        .size:           8
        .value_kind:     global_buffer
      - .actual_access:  read_only
        .address_space:  global
        .offset:         72
        .size:           8
        .value_kind:     global_buffer
      - .address_space:  global
        .offset:         80
        .size:           8
        .value_kind:     global_buffer
    .group_segment_fixed_size: 0
    .kernarg_segment_align: 8
    .kernarg_segment_size: 88
    .language:       OpenCL C
    .language_version:
      - 2
      - 0
    .max_flat_workgroup_size: 162
    .name:           fft_rtc_fwd_len1620_factors_10_3_3_6_3_wgs_162_tpt_162_halfLds_half_ip_CI_sbrr_dirReg
    .private_segment_fixed_size: 0
    .sgpr_count:     28
    .sgpr_spill_count: 0
    .symbol:         fft_rtc_fwd_len1620_factors_10_3_3_6_3_wgs_162_tpt_162_halfLds_half_ip_CI_sbrr_dirReg.kd
    .uniform_work_group_size: 1
    .uses_dynamic_stack: false
    .vgpr_count:     57
    .vgpr_spill_count: 0
    .wavefront_size: 64
amdhsa.target:   amdgcn-amd-amdhsa--gfx906
amdhsa.version:
  - 1
  - 2
...

	.end_amdgpu_metadata
